;; amdgpu-corpus repo=ROCm/rocFFT kind=compiled arch=gfx1201 opt=O3
	.text
	.amdgcn_target "amdgcn-amd-amdhsa--gfx1201"
	.amdhsa_code_object_version 6
	.protected	bluestein_single_back_len11_dim1_sp_op_CI_CI ; -- Begin function bluestein_single_back_len11_dim1_sp_op_CI_CI
	.globl	bluestein_single_back_len11_dim1_sp_op_CI_CI
	.p2align	8
	.type	bluestein_single_back_len11_dim1_sp_op_CI_CI,@function
bluestein_single_back_len11_dim1_sp_op_CI_CI: ; @bluestein_single_back_len11_dim1_sp_op_CI_CI
; %bb.0:
	s_load_b128 s[8:11], s[0:1], 0x28
	v_lshl_or_b32 v8, ttmp9, 7, v0
	v_mov_b32_e32 v9, 0
	s_mov_b32 s2, exec_lo
	s_wait_kmcnt 0x0
	s_delay_alu instid0(VALU_DEP_1)
	v_cmpx_gt_u64_e64 s[8:9], v[8:9]
	s_cbranch_execz .LBB0_2
; %bb.1:
	s_load_b128 s[20:23], s[0:1], 0x18
	s_wait_kmcnt 0x0
	s_load_b128 s[4:7], s[20:21], 0x0
	s_wait_kmcnt 0x0
	v_mad_co_u64_u32 v[1:2], null, s6, v8, 0
	s_lshl_b64 s[2:3], s[4:5], 3
	s_lshl_b64 s[8:9], s[4:5], 5
	s_delay_alu instid0(VALU_DEP_1) | instskip(SKIP_1) | instid1(VALU_DEP_1)
	v_mad_co_u64_u32 v[2:3], null, s7, v8, v[2:3]
	s_lshl_b64 s[6:7], s[4:5], 4
	v_lshlrev_b64_e32 v[1:2], 3, v[1:2]
	s_delay_alu instid0(VALU_DEP_1) | instskip(NEXT) | instid1(VALU_DEP_2)
	v_add_co_u32 v1, vcc_lo, s10, v1
	v_add_co_ci_u32_e32 v2, vcc_lo, s11, v2, vcc_lo
	s_lshl_b64 s[10:11], s[4:5], 6
	s_delay_alu instid0(VALU_DEP_2) | instskip(SKIP_1) | instid1(VALU_DEP_2)
	v_add_co_u32 v3, vcc_lo, v1, s2
	s_wait_alu 0xfffd
	v_add_co_ci_u32_e32 v4, vcc_lo, s3, v2, vcc_lo
	s_wait_alu 0xfffe
	v_add_co_u32 v5, vcc_lo, v1, s6
	v_mad_co_u64_u32 v[9:10], null, s4, 24, v[1:2]
	v_mad_co_u64_u32 v[13:14], null, s4, 40, v[1:2]
	;; [unrolled: 1-line block ×3, first 2 shown]
	s_wait_alu 0xfffd
	v_add_co_ci_u32_e32 v6, vcc_lo, s7, v2, vcc_lo
	v_mad_co_u64_u32 v[17:18], null, s4, 56, v[1:2]
	v_add_co_u32 v11, vcc_lo, v1, s8
	v_mad_co_u64_u32 v[21:22], null, 0x48, s4, v[1:2]
	s_wait_alu 0xfffd
	v_add_co_ci_u32_e32 v12, vcc_lo, s9, v2, vcc_lo
	v_mad_co_u64_u32 v[23:24], null, 0x50, s4, v[1:2]
	v_add_co_u32 v19, vcc_lo, v1, s10
	s_wait_alu 0xfffd
	v_add_co_ci_u32_e32 v20, vcc_lo, s11, v2, vcc_lo
	v_dual_mov_b32 v7, v10 :: v_dual_mov_b32 v10, v14
	s_clause 0x4
	global_load_b64 v[1:2], v[1:2], off
	global_load_b64 v[3:4], v[3:4], off
	;; [unrolled: 1-line block ×5, first 2 shown]
	v_dual_mov_b32 v11, v16 :: v_dual_mov_b32 v12, v18
	v_mov_b32_e32 v14, v22
	v_mov_b32_e32 v16, v24
	v_mad_co_u64_u32 v[27:28], null, s5, 24, v[7:8]
	s_delay_alu instid0(VALU_DEP_4)
	v_mad_co_u64_u32 v[28:29], null, s5, 40, v[10:11]
	v_mad_co_u64_u32 v[29:30], null, s5, 48, v[11:12]
	v_mad_co_u64_u32 v[11:12], null, s5, 56, v[12:13]
	v_mad_co_u64_u32 v[30:31], null, 0x48, s5, v[14:15]
	v_mad_co_u64_u32 v[31:32], null, 0x50, s5, v[16:17]
	v_mov_b32_e32 v10, v27
	v_mov_b32_e32 v14, v28
	;; [unrolled: 1-line block ×5, first 2 shown]
	s_clause 0x1
	global_load_b64 v[9:10], v[9:10], off
	global_load_b64 v[12:13], v[13:14], off
	v_mov_b32_e32 v24, v31
	s_clause 0x3
	global_load_b64 v[14:15], v[15:16], off
	global_load_b64 v[16:17], v[17:18], off
	;; [unrolled: 1-line block ×4, first 2 shown]
	s_load_b64 s[2:3], s[0:1], 0x0
	s_wait_kmcnt 0x0
	s_clause 0x1
	s_load_b512 s[36:51], s[2:3], 0x0
	s_load_b512 s[4:19], s[2:3], 0x40
	v_mul_u32_u24_e32 v11, 0x58, v0
	s_load_b128 s[28:31], s[22:23], 0x0
	s_load_b64 s[0:1], s[0:1], 0x38
	s_wait_loadcnt 0xa
	s_wait_kmcnt 0x0
	v_mul_f32_e32 v27, s37, v2
	s_wait_loadcnt 0x9
	v_dual_mul_f32 v7, s37, v1 :: v_dual_mul_f32 v0, s39, v4
	s_wait_loadcnt 0x6
	v_dual_mul_f32 v29, s45, v26 :: v_dual_mul_f32 v18, s5, v20
	v_fmac_f32_e32 v27, s36, v1
	s_delay_alu instid0(VALU_DEP_3) | instskip(SKIP_4) | instid1(VALU_DEP_4)
	v_fma_f32 v28, v2, s36, -v7
	v_dual_mul_f32 v1, s39, v3 :: v_dual_mul_f32 v2, s41, v6
	v_mul_f32_e32 v31, s5, v19
	v_mul_f32_e32 v7, s41, v5
	;; [unrolled: 1-line block ×3, first 2 shown]
	v_fma_f32 v1, v4, s38, -v1
	v_fmac_f32_e32 v2, s40, v5
	v_fmac_f32_e32 v29, s44, v25
	s_wait_loadcnt 0x5
	v_dual_mul_f32 v5, s43, v9 :: v_dual_fmac_f32 v0, s38, v3
	v_fma_f32 v3, v6, s40, -v7
	s_wait_loadcnt 0x3
	v_mul_f32_e32 v25, s49, v15
	v_fmac_f32_e32 v18, s4, v19
	v_fma_f32 v19, v20, s4, -v31
	s_wait_loadcnt 0x2
	v_dual_mul_f32 v31, s51, v17 :: v_dual_mul_f32 v4, s43, v10
	v_mul_f32_e32 v7, s47, v12
	s_wait_loadcnt 0x0
	v_dual_mul_f32 v33, s9, v24 :: v_dual_mul_f32 v6, s47, v13
	v_fma_f32 v30, v26, s44, -v30
	v_mul_f32_e32 v26, s49, v14
	v_mul_f32_e32 v32, s51, v16
	;; [unrolled: 1-line block ×3, first 2 shown]
	v_dual_mul_f32 v34, s7, v21 :: v_dual_mul_f32 v35, s9, v23
	v_fma_f32 v5, v10, s42, -v5
	v_dual_fmac_f32 v31, s50, v16 :: v_dual_fmac_f32 v4, s42, v9
	v_fma_f32 v7, v13, s46, -v7
	v_dual_fmac_f32 v33, s8, v23 :: v_dual_fmac_f32 v6, s46, v12
	v_fmac_f32_e32 v25, s48, v14
	v_fma_f32 v26, v15, s48, -v26
	v_fma_f32 v32, v17, s50, -v32
	v_fmac_f32_e32 v20, s6, v21
	v_fma_f32 v21, v22, s6, -v34
	v_fma_f32 v34, v24, s8, -v35
	ds_store_2addr_b64 v11, v[27:28], v[0:1] offset1:1
	ds_store_2addr_b64 v11, v[2:3], v[4:5] offset0:2 offset1:3
	ds_store_2addr_b64 v11, v[29:30], v[6:7] offset0:4 offset1:5
	;; [unrolled: 1-line block ×4, first 2 shown]
	ds_store_b64 v11, v[33:34] offset:80
	global_wb scope:SCOPE_SE
	s_wait_dscnt 0x0
	s_barrier_signal -1
	s_barrier_wait -1
	global_inv scope:SCOPE_SE
	ds_load_2addr_b64 v[12:15], v11 offset1:1
	ds_load_b64 v[9:10], v11 offset:80
	ds_load_2addr_b64 v[0:3], v11 offset0:8 offset1:9
	ds_load_2addr_b64 v[16:19], v11 offset0:2 offset1:3
	;; [unrolled: 1-line block ×4, first 2 shown]
	s_wait_dscnt 0x5
	v_dual_add_f32 v24, v12, v14 :: v_dual_add_f32 v25, v13, v15
	s_wait_dscnt 0x4
	v_dual_add_f32 v26, v9, v14 :: v_dual_add_f32 v27, v10, v15
	s_wait_dscnt 0x0
	v_dual_sub_f32 v14, v14, v9 :: v_dual_add_f32 v41, v5, v23
	v_dual_sub_f32 v15, v15, v10 :: v_dual_add_f32 v28, v2, v16
	v_sub_f32_e32 v43, v23, v5
	v_dual_add_f32 v29, v3, v17 :: v_dual_sub_f32 v30, v16, v2
	v_sub_f32_e32 v31, v17, v3
	v_dual_add_f32 v17, v25, v17 :: v_dual_add_f32 v32, v0, v18
	v_dual_sub_f32 v34, v18, v0 :: v_dual_mul_f32 v25, 0xbf0a6770, v14
	v_dual_sub_f32 v35, v19, v1 :: v_dual_add_f32 v36, v6, v20
	v_mul_f32_e32 v45, 0xbf68dda4, v14
	v_dual_sub_f32 v39, v21, v7 :: v_dual_sub_f32 v42, v22, v4
	v_dual_mul_f32 v47, 0xbf7d64f0, v14 :: v_dual_add_f32 v16, v24, v16
	v_mul_f32_e32 v49, 0xbf4178ce, v14
	v_dual_mul_f32 v24, 0xbf0a6770, v15 :: v_dual_mul_f32 v65, 0xbf0a6770, v34
	v_dual_mul_f32 v44, 0xbf68dda4, v15 :: v_dual_mul_f32 v51, 0xbf68dda4, v30
	;; [unrolled: 1-line block ×4, first 2 shown]
	v_mul_f32_e32 v15, 0xbe903f40, v15
	v_add_f32_e32 v33, v1, v19
	v_dual_add_f32 v37, v7, v21 :: v_dual_sub_f32 v38, v20, v6
	v_add_f32_e32 v40, v4, v22
	v_dual_mul_f32 v14, 0xbe903f40, v14 :: v_dual_add_f32 v17, v17, v19
	v_mul_f32_e32 v52, 0xbf4178ce, v31
	v_dual_mul_f32 v54, 0x3e903f40, v31 :: v_dual_mul_f32 v55, 0x3e903f40, v30
	v_dual_mul_f32 v56, 0x3f7d64f0, v31 :: v_dual_mul_f32 v57, 0x3f7d64f0, v30
	;; [unrolled: 1-line block ×5, first 2 shown]
	v_dual_add_f32 v16, v16, v18 :: v_dual_fmamk_f32 v19, v27, 0x3f575c64, v25
	v_mul_f32_e32 v30, 0x3f0a6770, v30
	v_fma_f32 v25, 0x3f575c64, v27, -v25
	v_mul_f32_e32 v50, 0xbf68dda4, v31
	v_mul_f32_e32 v31, 0x3f0a6770, v31
	v_dual_mul_f32 v64, 0xbf0a6770, v35 :: v_dual_mul_f32 v71, 0xbf0a6770, v38
	v_fma_f32 v82, 0x3ed4b147, v26, -v44
	v_dual_fmamk_f32 v83, v27, 0x3ed4b147, v45 :: v_dual_fmac_f32 v44, 0x3ed4b147, v26
	v_mul_f32_e32 v34, 0xbf4178ce, v34
	v_fma_f32 v45, 0x3ed4b147, v27, -v45
	v_mul_f32_e32 v58, 0xbf7d64f0, v35
	v_mul_f32_e32 v35, 0xbf4178ce, v35
	v_fmamk_f32 v85, v27, 0xbe11bafb, v47
	v_fma_f32 v47, 0xbe11bafb, v27, -v47
	v_fma_f32 v88, 0xbf75a155, v26, -v15
	v_mul_f32_e32 v67, 0xbf4178ce, v38
	v_dual_mul_f32 v68, 0x3f7d64f0, v39 :: v_dual_mul_f32 v69, 0x3f7d64f0, v38
	v_dual_mul_f32 v72, 0xbe903f40, v39 :: v_dual_mul_f32 v73, 0xbe903f40, v38
	v_mul_f32_e32 v38, 0x3f68dda4, v38
	v_dual_mul_f32 v74, 0xbe903f40, v43 :: v_dual_mul_f32 v75, 0xbe903f40, v42
	v_fma_f32 v18, 0x3f575c64, v26, -v24
	v_fmac_f32_e32 v24, 0x3f575c64, v26
	v_fma_f32 v84, 0xbe11bafb, v26, -v46
	v_fmac_f32_e32 v46, 0xbe11bafb, v26
	v_dual_mul_f32 v70, 0xbf0a6770, v39 :: v_dual_add_f32 v85, v13, v85
	v_mul_f32_e32 v39, 0x3f68dda4, v39
	v_fma_f32 v86, 0xbf27a4f4, v26, -v48
	v_dual_fmamk_f32 v87, v27, 0xbf27a4f4, v49 :: v_dual_fmac_f32 v48, 0xbf27a4f4, v26
	v_fma_f32 v49, 0xbf27a4f4, v27, -v49
	v_dual_fmamk_f32 v89, v27, 0xbf75a155, v14 :: v_dual_add_f32 v18, v12, v18
	v_fmac_f32_e32 v15, 0xbf75a155, v26
	v_fma_f32 v14, 0xbf75a155, v27, -v14
	v_fma_f32 v90, 0xbf27a4f4, v28, -v52
	v_dual_fmamk_f32 v91, v29, 0xbf27a4f4, v53 :: v_dual_fmac_f32 v52, 0xbf27a4f4, v28
	v_fma_f32 v53, 0xbf27a4f4, v29, -v53
	v_fma_f32 v92, 0xbf75a155, v28, -v54
	v_dual_fmamk_f32 v93, v29, 0xbf75a155, v55 :: v_dual_fmac_f32 v54, 0xbf75a155, v28
	;; [unrolled: 3-line block ×3, first 2 shown]
	v_fma_f32 v57, 0xbe11bafb, v29, -v57
	v_fma_f32 v96, 0x3f575c64, v28, -v31
	v_fmac_f32_e32 v31, 0x3f575c64, v28
	v_fma_f32 v98, 0xbf75a155, v32, -v60
	v_dual_fmamk_f32 v99, v33, 0xbf75a155, v61 :: v_dual_fmac_f32 v60, 0xbf75a155, v32
	v_fma_f32 v61, 0xbf75a155, v33, -v61
	v_fma_f32 v100, 0x3ed4b147, v32, -v62
	v_dual_fmamk_f32 v101, v33, 0x3ed4b147, v63 :: v_dual_fmac_f32 v62, 0x3ed4b147, v32
	v_fma_f32 v63, 0x3ed4b147, v33, -v63
	;; [unrolled: 3-line block ×3, first 2 shown]
	v_fma_f32 v104, 0xbf27a4f4, v32, -v35
	v_dual_fmac_f32 v35, 0xbf27a4f4, v32 :: v_dual_add_f32 v46, v12, v46
	v_add_f32_e32 v19, v13, v19
	v_dual_fmamk_f32 v97, v29, 0x3f575c64, v30 :: v_dual_add_f32 v24, v12, v24
	v_add_f32_e32 v25, v13, v25
	v_fma_f32 v26, 0x3ed4b147, v28, -v50
	v_dual_fmamk_f32 v27, v29, 0x3ed4b147, v51 :: v_dual_fmac_f32 v50, 0x3ed4b147, v28
	v_fma_f32 v51, 0x3ed4b147, v29, -v51
	v_fma_f32 v28, 0x3f575c64, v29, -v30
	s_delay_alu instid0(VALU_DEP_3)
	v_dual_fmamk_f32 v30, v33, 0xbe11bafb, v59 :: v_dual_add_f32 v19, v27, v19
	v_fma_f32 v59, 0xbe11bafb, v33, -v59
	v_add_f32_e32 v83, v13, v83
	v_dual_fmamk_f32 v105, v33, 0xbf27a4f4, v34 :: v_dual_add_f32 v82, v12, v82
	v_add_f32_e32 v45, v13, v45
	v_fma_f32 v29, 0xbe11bafb, v32, -v58
	v_dual_fmac_f32 v58, 0xbe11bafb, v32 :: v_dual_fmamk_f32 v107, v37, 0xbe11bafb, v69
	v_fma_f32 v32, 0xbf27a4f4, v33, -v34
	v_fma_f32 v33, 0xbf27a4f4, v36, -v66
	v_dual_fmac_f32 v66, 0xbf27a4f4, v36 :: v_dual_add_f32 v47, v13, v47
	v_dual_add_f32 v88, v12, v88 :: v_dual_add_f32 v17, v17, v21
	v_add_f32_e32 v16, v16, v20
	v_dual_mul_f32 v76, 0x3f0a6770, v43 :: v_dual_mul_f32 v77, 0x3f0a6770, v42
	v_dual_mul_f32 v78, 0xbf4178ce, v43 :: v_dual_add_f32 v49, v13, v49
	v_dual_mul_f32 v80, 0x3f68dda4, v43 :: v_dual_mul_f32 v81, 0x3f68dda4, v42
	v_dual_mul_f32 v43, 0xbf7d64f0, v43 :: v_dual_mul_f32 v42, 0xbf7d64f0, v42
	v_dual_fmamk_f32 v34, v37, 0xbf27a4f4, v67 :: v_dual_add_f32 v25, v51, v25
	v_fma_f32 v67, 0xbf27a4f4, v37, -v67
	v_fma_f32 v106, 0xbe11bafb, v36, -v68
	v_dual_fmac_f32 v68, 0xbe11bafb, v36 :: v_dual_add_f32 v87, v13, v87
	v_fma_f32 v69, 0xbe11bafb, v37, -v69
	v_fma_f32 v108, 0x3f575c64, v36, -v70
	v_dual_fmamk_f32 v109, v37, 0x3f575c64, v71 :: v_dual_fmac_f32 v70, 0x3f575c64, v36
	v_fma_f32 v71, 0x3f575c64, v37, -v71
	v_fma_f32 v110, 0xbf75a155, v36, -v72
	v_dual_fmamk_f32 v111, v37, 0xbf75a155, v73 :: v_dual_add_f32 v44, v12, v44
	v_fmac_f32_e32 v72, 0xbf75a155, v36
	v_fma_f32 v73, 0xbf75a155, v37, -v73
	v_fma_f32 v112, 0x3ed4b147, v36, -v39
	v_dual_fmac_f32 v39, 0x3ed4b147, v36 :: v_dual_fmamk_f32 v36, v37, 0x3ed4b147, v38
	v_fma_f32 v37, 0x3ed4b147, v37, -v38
	v_fma_f32 v38, 0xbf75a155, v40, -v74
	v_dual_add_f32 v84, v12, v84 :: v_dual_add_f32 v89, v13, v89
	v_dual_add_f32 v86, v12, v86 :: v_dual_fmamk_f32 v113, v41, 0x3f575c64, v77
	v_dual_add_f32 v48, v12, v48 :: v_dual_add_f32 v13, v13, v14
	v_add_f32_e32 v12, v12, v15
	v_dual_fmac_f32 v74, 0xbf75a155, v40 :: v_dual_add_f32 v17, v17, v23
	v_dual_add_f32 v47, v55, v47 :: v_dual_add_f32 v16, v16, v22
	v_dual_fmamk_f32 v14, v41, 0xbf75a155, v75 :: v_dual_add_f32 v27, v91, v83
	v_fma_f32 v15, 0xbf75a155, v41, -v75
	v_fma_f32 v75, 0x3f575c64, v40, -v76
	v_dual_fmac_f32 v76, 0x3f575c64, v40 :: v_dual_add_f32 v51, v94, v86
	v_fma_f32 v20, 0x3f575c64, v41, -v77
	v_fma_f32 v21, 0xbf27a4f4, v40, -v78
	v_fmamk_f32 v22, v41, 0xbf27a4f4, v79
	v_dual_fmac_f32 v78, 0xbf27a4f4, v40 :: v_dual_add_f32 v49, v57, v49
	v_fma_f32 v77, 0xbf27a4f4, v41, -v79
	v_fma_f32 v23, 0x3ed4b147, v40, -v80
	v_dual_fmamk_f32 v79, v41, 0x3ed4b147, v81 :: v_dual_fmac_f32 v80, 0x3ed4b147, v40
	v_add_f32_e32 v13, v28, v13
	v_fma_f32 v81, 0x3ed4b147, v41, -v81
	v_fma_f32 v114, 0xbe11bafb, v40, -v43
	v_dual_fmac_f32 v43, 0xbe11bafb, v40 :: v_dual_fmamk_f32 v40, v41, 0xbe11bafb, v42
	v_fma_f32 v41, 0xbe11bafb, v41, -v42
	v_dual_add_f32 v18, v26, v18 :: v_dual_add_f32 v5, v17, v5
	v_add_f32_e32 v24, v50, v24
	v_dual_add_f32 v42, v52, v44 :: v_dual_add_f32 v17, v30, v19
	v_dual_add_f32 v44, v53, v45 :: v_dual_add_f32 v45, v92, v84
	s_delay_alu instid0(VALU_DEP_4)
	v_dual_add_f32 v48, v56, v48 :: v_dual_add_f32 v5, v5, v7
	v_add_f32_e32 v53, v96, v88
	v_add_f32_e32 v12, v31, v12
	v_dual_add_f32 v4, v16, v4 :: v_dual_add_f32 v7, v34, v17
	v_add_f32_e32 v19, v59, v25
	v_dual_add_f32 v31, v63, v47 :: v_dual_add_f32 v46, v54, v46
	;; [unrolled: 2-line block ×5, first 2 shown]
	s_delay_alu instid0(VALU_DEP_4)
	v_add_f32_e32 v29, v101, v50
	v_dual_add_f32 v17, v67, v19 :: v_dual_add_f32 v4, v4, v6
	v_add_f32_e32 v48, v105, v54
	v_dual_add_f32 v18, v58, v24 :: v_dual_add_f32 v19, v107, v25
	v_dual_add_f32 v27, v61, v44 :: v_dual_add_f32 v24, v98, v26
	v_add_f32_e32 v26, v60, v42
	v_dual_add_f32 v44, v103, v52 :: v_dual_add_f32 v37, v37, v13
	v_add_f32_e32 v30, v62, v46
	v_add_f32_e32 v46, v65, v49
	v_dual_add_f32 v47, v104, v53 :: v_dual_add_f32 v12, v35, v12
	v_dual_add_f32 v35, v36, v48 :: v_dual_add_f32 v42, v102, v51
	v_add_f32_e32 v25, v69, v27
	v_add_f32_e32 v6, v33, v16
	v_dual_add_f32 v16, v66, v18 :: v_dual_add_f32 v27, v109, v29
	v_add_f32_e32 v29, v71, v31
	v_add_f32_e32 v31, v111, v44
	;; [unrolled: 1-line block ×4, first 2 shown]
	v_dual_add_f32 v33, v73, v46 :: v_dual_add_f32 v26, v108, v28
	v_add_f32_e32 v28, v70, v30
	v_add_f32_e32 v30, v110, v42
	v_dual_add_f32 v42, v5, v1 :: v_dual_add_f32 v1, v14, v7
	v_add_f32_e32 v36, v39, v12
	v_add_f32_e32 v5, v15, v17
	;; [unrolled: 1-line block ×3, first 2 shown]
	v_dual_add_f32 v34, v112, v47 :: v_dual_add_f32 v17, v77, v29
	v_dual_add_f32 v32, v72, v45 :: v_dual_add_f32 v15, v22, v27
	v_add_f32_e32 v12, v76, v24
	s_delay_alu instid0(VALU_DEP_4)
	v_dual_add_f32 v24, v39, v2 :: v_dual_add_f32 v13, v20, v25
	v_add_f32_e32 v25, v42, v3
	v_dual_add_f32 v0, v38, v6 :: v_dual_add_f32 v7, v113, v19
	v_add_f32_e32 v19, v79, v31
	v_add_f32_e32 v6, v75, v18
	v_dual_add_f32 v22, v114, v34 :: v_dual_add_f32 v3, v41, v37
	v_dual_add_f32 v18, v23, v30 :: v_dual_add_f32 v23, v40, v35
	v_add_f32_e32 v14, v21, v26
	v_dual_add_f32 v20, v80, v32 :: v_dual_add_f32 v21, v81, v33
	v_dual_add_f32 v9, v24, v9 :: v_dual_add_f32 v2, v43, v36
	v_add_f32_e32 v4, v74, v16
	v_add_f32_e32 v16, v78, v28
	;; [unrolled: 1-line block ×3, first 2 shown]
	ds_store_2addr_b64 v11, v[18:19], v[22:23] offset0:4 offset1:5
	ds_store_2addr_b64 v11, v[2:3], v[20:21] offset0:6 offset1:7
	;; [unrolled: 1-line block ×3, first 2 shown]
	ds_store_b64 v11, v[4:5] offset:80
	ds_store_2addr_b64 v11, v[9:10], v[0:1] offset1:1
	ds_store_2addr_b64 v11, v[6:7], v[14:15] offset0:2 offset1:3
	global_wb scope:SCOPE_SE
	s_wait_dscnt 0x0
	s_barrier_signal -1
	s_barrier_wait -1
	global_inv scope:SCOPE_SE
	ds_load_2addr_b64 v[0:3], v11 offset1:1
	ds_load_2addr_b64 v[4:7], v11 offset0:2 offset1:3
	ds_load_2addr_b64 v[12:15], v11 offset0:4 offset1:5
	s_load_b256 s[20:27], s[2:3], 0x80
	ds_load_2addr_b64 v[16:19], v11 offset0:6 offset1:7
	ds_load_2addr_b64 v[20:23], v11 offset0:8 offset1:9
	s_load_b128 s[52:55], s[2:3], 0xa0
	ds_load_b64 v[9:10], v11 offset:80
	s_mov_b32 s2, 0x745d1746
	s_mov_b32 s3, 0x3fb745d1
	s_wait_dscnt 0x5
	v_mul_f32_e32 v25, s11, v0
	v_mul_f32_e32 v27, s13, v2
	s_wait_dscnt 0x4
	v_dual_mul_f32 v29, s15, v4 :: v_dual_mul_f32 v26, s13, v3
	v_dual_mul_f32 v31, s17, v6 :: v_dual_mul_f32 v24, s11, v1
	s_wait_dscnt 0x3
	v_dual_mul_f32 v33, s19, v12 :: v_dual_mul_f32 v30, s17, v7
	s_wait_kmcnt 0x0
	v_dual_mul_f32 v35, s21, v14 :: v_dual_mul_f32 v28, s15, v5
	s_wait_dscnt 0x2
	v_dual_mul_f32 v37, s23, v16 :: v_dual_mul_f32 v34, s21, v15
	v_dual_mul_f32 v39, s25, v18 :: v_dual_mul_f32 v32, s19, v13
	s_wait_dscnt 0x1
	v_dual_mul_f32 v41, s27, v20 :: v_dual_mul_f32 v38, s25, v19
	;; [unrolled: 3-line block ×3, first 2 shown]
	v_mul_f32_e32 v40, s27, v21
	v_dual_mul_f32 v44, s55, v10 :: v_dual_fmac_f32 v25, s10, v1
	v_fmac_f32_e32 v27, s12, v3
	v_fmac_f32_e32 v29, s14, v5
	v_fma_f32 v26, v2, s12, -v26
	v_fmac_f32_e32 v31, s16, v7
	v_fma_f32 v24, v0, s10, -v24
	;; [unrolled: 2-line block ×8, first 2 shown]
	v_fma_f32 v42, v22, s52, -v42
	v_fmac_f32_e32 v45, s54, v10
	v_fma_f32 v40, v20, s26, -v40
	v_fma_f32 v44, v9, s54, -v44
	ds_store_2addr_b64 v11, v[24:25], v[26:27] offset1:1
	ds_store_2addr_b64 v11, v[28:29], v[30:31] offset0:2 offset1:3
	ds_store_2addr_b64 v11, v[32:33], v[34:35] offset0:4 offset1:5
	;; [unrolled: 1-line block ×4, first 2 shown]
	ds_store_b64 v11, v[44:45] offset:80
	global_wb scope:SCOPE_SE
	s_wait_dscnt 0x0
	s_barrier_signal -1
	s_barrier_wait -1
	global_inv scope:SCOPE_SE
	ds_load_2addr_b64 v[0:3], v11 offset1:1
	ds_load_b64 v[9:10], v11 offset:80
	ds_load_2addr_b64 v[4:7], v11 offset0:8 offset1:9
	ds_load_2addr_b64 v[12:15], v11 offset0:2 offset1:3
	;; [unrolled: 1-line block ×4, first 2 shown]
	s_wait_dscnt 0x5
	v_dual_add_f32 v25, v1, v3 :: v_dual_add_f32 v24, v0, v2
	s_wait_dscnt 0x4
	v_dual_add_f32 v27, v10, v3 :: v_dual_add_f32 v26, v9, v2
	s_wait_dscnt 0x2
	v_add_f32_e32 v29, v7, v13
	v_dual_sub_f32 v2, v2, v9 :: v_dual_sub_f32 v31, v13, v7
	v_dual_sub_f32 v3, v3, v10 :: v_dual_add_f32 v28, v6, v12
	v_dual_add_f32 v13, v25, v13 :: v_dual_sub_f32 v30, v12, v6
	v_dual_mul_f32 v25, 0x3f575c64, v27 :: v_dual_add_f32 v12, v24, v12
	v_mul_f32_e32 v33, 0x3ed4b147, v27
	s_delay_alu instid0(VALU_DEP_4) | instskip(SKIP_1) | instid1(VALU_DEP_4)
	v_mul_f32_e32 v24, 0xbf0a6770, v3
	v_mul_f32_e32 v35, 0xbe11bafb, v27
	v_dual_add_f32 v13, v13, v15 :: v_dual_fmamk_f32 v42, v2, 0x3f0a6770, v25
	v_add_f32_e32 v12, v12, v14
	v_mul_f32_e32 v32, 0xbf68dda4, v3
	v_mul_f32_e32 v37, 0xbf27a4f4, v27
	s_wait_dscnt 0x1
	v_dual_mul_f32 v40, 0xbf4178ce, v31 :: v_dual_add_f32 v13, v13, v17
	v_fmac_f32_e32 v25, 0xbf0a6770, v2
	v_fmamk_f32 v44, v2, 0x3f68dda4, v33
	v_fmamk_f32 v41, v26, 0x3f575c64, v24
	v_fma_f32 v24, 0x3f575c64, v26, -v24
	v_dual_mul_f32 v27, 0xbf75a155, v27 :: v_dual_add_f32 v12, v12, v16
	v_mul_f32_e32 v34, 0xbf7d64f0, v3
	v_mul_f32_e32 v36, 0xbf4178ce, v3
	v_fmac_f32_e32 v33, 0xbf68dda4, v2
	s_delay_alu instid0(VALU_DEP_4)
	v_dual_fmamk_f32 v43, v26, 0x3ed4b147, v32 :: v_dual_add_f32 v12, v12, v18
	v_add_f32_e32 v24, v0, v24
	v_dual_fmamk_f32 v50, v2, 0x3e903f40, v27 :: v_dual_add_f32 v13, v13, v19
	v_fma_f32 v32, 0x3ed4b147, v26, -v32
	v_dual_fmamk_f32 v46, v2, 0x3f7d64f0, v35 :: v_dual_add_f32 v25, v1, v25
	v_fmac_f32_e32 v35, 0xbf7d64f0, v2
	s_delay_alu instid0(VALU_DEP_3)
	v_dual_fmamk_f32 v45, v26, 0xbe11bafb, v34 :: v_dual_add_f32 v32, v0, v32
	v_fma_f32 v34, 0xbe11bafb, v26, -v34
	v_dual_fmamk_f32 v48, v2, 0x3f4178ce, v37 :: v_dual_add_f32 v43, v0, v43
	v_fmac_f32_e32 v37, 0xbf4178ce, v2
	s_wait_dscnt 0x0
	v_dual_fmamk_f32 v47, v26, 0xbf27a4f4, v36 :: v_dual_add_f32 v12, v12, v20
	v_dual_add_f32 v13, v13, v21 :: v_dual_add_f32 v34, v0, v34
	v_fma_f32 v36, 0xbf27a4f4, v26, -v36
	s_delay_alu instid0(VALU_DEP_3) | instskip(NEXT) | instid1(VALU_DEP_3)
	v_dual_add_f32 v35, v1, v35 :: v_dual_add_f32 v12, v12, v22
	v_add_f32_e32 v13, v13, v23
	v_dual_mul_f32 v3, 0xbe903f40, v3 :: v_dual_add_f32 v42, v1, v42
	v_mul_f32_e32 v39, 0x3ed4b147, v29
	v_mul_f32_e32 v38, 0xbf68dda4, v31
	v_add_f32_e32 v36, v0, v36
	v_dual_add_f32 v12, v12, v4 :: v_dual_add_f32 v13, v13, v5
	v_dual_fmamk_f32 v49, v26, 0xbf75a155, v3 :: v_dual_add_f32 v46, v1, v46
	v_fma_f32 v3, 0xbf75a155, v26, -v3
	v_dual_fmac_f32 v27, 0xbe903f40, v2 :: v_dual_add_f32 v48, v1, v48
	v_dual_fmamk_f32 v26, v30, 0x3f68dda4, v39 :: v_dual_add_f32 v33, v1, v33
	v_fmac_f32_e32 v39, 0xbf68dda4, v30
	v_fmamk_f32 v2, v28, 0x3ed4b147, v38
	v_fma_f32 v38, 0x3ed4b147, v28, -v38
	v_dual_add_f32 v37, v1, v37 :: v_dual_add_f32 v6, v12, v6
	v_add_f32_e32 v7, v13, v7
	v_dual_add_f32 v44, v1, v44 :: v_dual_add_f32 v41, v0, v41
	v_dual_add_f32 v45, v0, v45 :: v_dual_add_f32 v50, v1, v50
	v_add_f32_e32 v47, v0, v47
	v_dual_add_f32 v49, v0, v49 :: v_dual_add_f32 v12, v1, v27
	v_dual_add_f32 v3, v0, v3 :: v_dual_add_f32 v0, v6, v9
	v_dual_add_f32 v1, v7, v10 :: v_dual_fmamk_f32 v6, v28, 0xbf27a4f4, v40
	v_add_f32_e32 v7, v26, v42
	v_add_f32_e32 v10, v38, v24
	v_mul_f32_e32 v24, 0x3e903f40, v31
	v_fma_f32 v26, 0xbf27a4f4, v28, -v40
	v_mul_f32_e32 v27, 0xbf75a155, v29
	v_dual_mul_f32 v9, 0xbf27a4f4, v29 :: v_dual_add_f32 v6, v6, v43
	s_delay_alu instid0(VALU_DEP_4) | instskip(NEXT) | instid1(VALU_DEP_4)
	v_dual_add_f32 v13, v39, v25 :: v_dual_fmamk_f32 v38, v28, 0xbf75a155, v24
	v_add_f32_e32 v26, v26, v32
	s_delay_alu instid0(VALU_DEP_4) | instskip(SKIP_4) | instid1(VALU_DEP_4)
	v_fmamk_f32 v32, v30, 0xbe903f40, v27
	v_fma_f32 v24, 0xbf75a155, v28, -v24
	v_fmac_f32_e32 v27, 0x3e903f40, v30
	v_mul_f32_e32 v39, 0xbe11bafb, v29
	v_add_f32_e32 v2, v2, v41
	v_dual_mul_f32 v29, 0x3f575c64, v29 :: v_dual_add_f32 v24, v24, v34
	s_delay_alu instid0(VALU_DEP_4) | instskip(SKIP_4) | instid1(VALU_DEP_4)
	v_add_f32_e32 v27, v27, v35
	v_dual_fmamk_f32 v25, v30, 0x3f4178ce, v9 :: v_dual_add_f32 v32, v32, v46
	v_fmamk_f32 v34, v30, 0xbf7d64f0, v39
	v_fmac_f32_e32 v9, 0xbf4178ce, v30
	v_fmac_f32_e32 v39, 0x3f7d64f0, v30
	v_add_f32_e32 v25, v25, v44
	s_delay_alu instid0(VALU_DEP_3) | instskip(SKIP_2) | instid1(VALU_DEP_2)
	v_dual_add_f32 v34, v34, v48 :: v_dual_add_f32 v9, v9, v33
	v_dual_add_f32 v33, v38, v45 :: v_dual_mul_f32 v38, 0x3f7d64f0, v31
	v_mul_f32_e32 v31, 0x3f0a6770, v31
	v_dual_add_f32 v37, v39, v37 :: v_dual_fmamk_f32 v40, v28, 0xbe11bafb, v38
	v_fma_f32 v38, 0xbe11bafb, v28, -v38
	s_delay_alu instid0(VALU_DEP_2) | instskip(NEXT) | instid1(VALU_DEP_4)
	v_add_f32_e32 v35, v40, v47
	v_fmamk_f32 v40, v28, 0x3f575c64, v31
	s_delay_alu instid0(VALU_DEP_3) | instskip(NEXT) | instid1(VALU_DEP_2)
	v_add_f32_e32 v36, v38, v36
	v_add_f32_e32 v38, v40, v49
	v_fmamk_f32 v40, v30, 0xbf0a6770, v29
	v_fmac_f32_e32 v29, 0x3f0a6770, v30
	v_sub_f32_e32 v39, v15, v5
	v_fma_f32 v28, 0x3f575c64, v28, -v31
	s_delay_alu instid0(VALU_DEP_4) | instskip(NEXT) | instid1(VALU_DEP_3)
	v_add_f32_e32 v30, v40, v50
	v_dual_add_f32 v12, v29, v12 :: v_dual_mul_f32 v31, 0xbf7d64f0, v39
	v_add_f32_e32 v5, v5, v15
	v_dual_add_f32 v15, v4, v14 :: v_dual_sub_f32 v4, v14, v4
	s_delay_alu instid0(VALU_DEP_1) | instskip(NEXT) | instid1(VALU_DEP_3)
	v_fmamk_f32 v40, v15, 0xbe11bafb, v31
	v_dual_mul_f32 v14, 0xbe11bafb, v5 :: v_dual_add_f32 v3, v28, v3
	s_delay_alu instid0(VALU_DEP_2) | instskip(NEXT) | instid1(VALU_DEP_2)
	v_add_f32_e32 v2, v40, v2
	v_fmamk_f32 v28, v4, 0x3f7d64f0, v14
	v_fma_f32 v31, 0xbe11bafb, v15, -v31
	v_mul_f32_e32 v29, 0x3e903f40, v39
	v_fmac_f32_e32 v14, 0xbf7d64f0, v4
	s_delay_alu instid0(VALU_DEP_1) | instskip(NEXT) | instid1(VALU_DEP_3)
	v_dual_add_f32 v10, v31, v10 :: v_dual_add_f32 v13, v14, v13
	v_dual_add_f32 v7, v28, v7 :: v_dual_fmamk_f32 v28, v15, 0xbf75a155, v29
	v_fma_f32 v29, 0xbf75a155, v15, -v29
	s_delay_alu instid0(VALU_DEP_2) | instskip(NEXT) | instid1(VALU_DEP_1)
	v_dual_mul_f32 v41, 0x3ed4b147, v5 :: v_dual_add_f32 v6, v28, v6
	v_dual_add_f32 v26, v29, v26 :: v_dual_fmamk_f32 v29, v4, 0xbf68dda4, v41
	v_mul_f32_e32 v40, 0xbf75a155, v5
	v_fmac_f32_e32 v41, 0x3f68dda4, v4
	s_delay_alu instid0(VALU_DEP_2) | instskip(NEXT) | instid1(VALU_DEP_1)
	v_dual_add_f32 v29, v29, v32 :: v_dual_fmamk_f32 v28, v4, 0xbe903f40, v40
	v_dual_mul_f32 v14, 0x3f68dda4, v39 :: v_dual_add_f32 v25, v28, v25
	s_delay_alu instid0(VALU_DEP_1) | instskip(SKIP_1) | instid1(VALU_DEP_2)
	v_fmamk_f32 v31, v15, 0x3ed4b147, v14
	v_fma_f32 v14, 0x3ed4b147, v15, -v14
	v_add_f32_e32 v28, v31, v33
	v_mul_f32_e32 v33, 0x3f575c64, v5
	s_delay_alu instid0(VALU_DEP_3) | instskip(SKIP_2) | instid1(VALU_DEP_4)
	v_dual_mul_f32 v31, 0xbf0a6770, v39 :: v_dual_add_f32 v14, v14, v24
	v_add_f32_e32 v24, v41, v27
	v_mul_f32_e32 v39, 0xbf4178ce, v39
	v_fmamk_f32 v27, v4, 0x3f0a6770, v33
	v_fmac_f32_e32 v33, 0xbf0a6770, v4
	v_fmac_f32_e32 v40, 0x3e903f40, v4
	v_mul_f32_e32 v5, 0xbf27a4f4, v5
	s_delay_alu instid0(VALU_DEP_4) | instskip(NEXT) | instid1(VALU_DEP_4)
	v_add_f32_e32 v27, v27, v34
	v_dual_add_f32 v33, v33, v37 :: v_dual_fmamk_f32 v34, v15, 0xbf27a4f4, v39
	s_delay_alu instid0(VALU_DEP_1) | instskip(SKIP_2) | instid1(VALU_DEP_1)
	v_dual_add_f32 v34, v34, v38 :: v_dual_add_f32 v9, v40, v9
	v_fmamk_f32 v32, v15, 0x3f575c64, v31
	v_fma_f32 v31, 0x3f575c64, v15, -v31
	v_dual_add_f32 v32, v32, v35 :: v_dual_add_f32 v31, v31, v36
	v_dual_fmamk_f32 v36, v4, 0x3f4178ce, v5 :: v_dual_sub_f32 v35, v17, v23
	v_dual_fmac_f32 v5, 0xbf4178ce, v4 :: v_dual_sub_f32 v4, v16, v22
	v_add_f32_e32 v37, v22, v16
	v_add_f32_e32 v17, v23, v17
	v_fma_f32 v15, 0xbf27a4f4, v15, -v39
	v_add_f32_e32 v30, v36, v30
	s_delay_alu instid0(VALU_DEP_3) | instskip(SKIP_1) | instid1(VALU_DEP_2)
	v_mul_f32_e32 v16, 0xbf27a4f4, v17
	v_mul_f32_e32 v23, 0xbf4178ce, v35
	v_dual_add_f32 v5, v5, v12 :: v_dual_fmamk_f32 v12, v4, 0x3f4178ce, v16
	v_fmac_f32_e32 v16, 0xbf4178ce, v4
	s_delay_alu instid0(VALU_DEP_3) | instskip(SKIP_1) | instid1(VALU_DEP_4)
	v_dual_fmamk_f32 v22, v37, 0xbf27a4f4, v23 :: v_dual_add_f32 v3, v15, v3
	v_mul_f32_e32 v15, 0x3f7d64f0, v35
	v_dual_add_f32 v7, v12, v7 :: v_dual_mul_f32 v12, 0xbe11bafb, v17
	s_delay_alu instid0(VALU_DEP_3) | instskip(SKIP_1) | instid1(VALU_DEP_1)
	v_add_f32_e32 v2, v22, v2
	v_fma_f32 v22, 0xbf27a4f4, v37, -v23
	v_add_f32_e32 v10, v22, v10
	s_delay_alu instid0(VALU_DEP_4) | instskip(SKIP_2) | instid1(VALU_DEP_3)
	v_fmamk_f32 v22, v4, 0xbf7d64f0, v12
	v_fmamk_f32 v23, v37, 0xbe11bafb, v15
	v_fmac_f32_e32 v12, 0x3f7d64f0, v4
	v_add_f32_e32 v22, v22, v25
	s_delay_alu instid0(VALU_DEP_3) | instskip(SKIP_4) | instid1(VALU_DEP_3)
	v_add_f32_e32 v6, v23, v6
	v_fma_f32 v15, 0xbe11bafb, v37, -v15
	v_mul_f32_e32 v25, 0x3f575c64, v17
	v_dual_add_f32 v12, v12, v9 :: v_dual_mul_f32 v9, 0xbe903f40, v35
	v_dual_add_f32 v13, v16, v13 :: v_dual_mul_f32 v16, 0xbf0a6770, v35
	v_dual_add_f32 v15, v15, v26 :: v_dual_fmamk_f32 v26, v4, 0x3f0a6770, v25
	s_delay_alu instid0(VALU_DEP_2) | instskip(SKIP_1) | instid1(VALU_DEP_1)
	v_fmamk_f32 v23, v37, 0x3f575c64, v16
	v_fma_f32 v16, 0x3f575c64, v37, -v16
	v_dual_add_f32 v14, v16, v14 :: v_dual_fmac_f32 v25, 0xbf0a6770, v4
	s_delay_alu instid0(VALU_DEP_1) | instskip(SKIP_2) | instid1(VALU_DEP_2)
	v_add_f32_e32 v24, v25, v24
	v_fmamk_f32 v36, v37, 0xbf75a155, v9
	v_fma_f32 v9, 0xbf75a155, v37, -v9
	v_add_f32_e32 v25, v36, v32
	s_delay_alu instid0(VALU_DEP_2) | instskip(SKIP_2) | instid1(VALU_DEP_2)
	v_dual_add_f32 v31, v9, v31 :: v_dual_add_f32 v26, v26, v29
	v_dual_add_f32 v23, v23, v28 :: v_dual_mul_f32 v28, 0xbf75a155, v17
	v_mul_f32_e32 v17, 0x3ed4b147, v17
	v_fmamk_f32 v16, v4, 0x3e903f40, v28
	s_delay_alu instid0(VALU_DEP_2) | instskip(SKIP_2) | instid1(VALU_DEP_4)
	v_fmamk_f32 v32, v4, 0xbf68dda4, v17
	v_mul_f32_e32 v29, 0x3f68dda4, v35
	v_dual_fmac_f32 v28, 0xbe903f40, v4 :: v_dual_sub_f32 v35, v19, v21
	v_add_f32_e32 v27, v16, v27
	s_delay_alu instid0(VALU_DEP_4) | instskip(NEXT) | instid1(VALU_DEP_4)
	v_dual_add_f32 v19, v21, v19 :: v_dual_add_f32 v30, v32, v30
	v_fmamk_f32 v16, v37, 0x3ed4b147, v29
	s_delay_alu instid0(VALU_DEP_4) | instskip(SKIP_1) | instid1(VALU_DEP_3)
	v_add_f32_e32 v28, v28, v33
	v_dual_add_f32 v32, v20, v18 :: v_dual_mul_f32 v9, 0xbe903f40, v35
	v_dual_sub_f32 v20, v18, v20 :: v_dual_add_f32 v33, v16, v34
	v_fma_f32 v16, 0x3ed4b147, v37, -v29
	v_mul_f32_e32 v18, 0xbf75a155, v19
	v_fmac_f32_e32 v17, 0x3f68dda4, v4
	s_delay_alu instid0(VALU_DEP_3) | instskip(NEXT) | instid1(VALU_DEP_3)
	v_add_f32_e32 v29, v16, v3
	v_fmamk_f32 v3, v20, 0x3e903f40, v18
	s_delay_alu instid0(VALU_DEP_1) | instskip(NEXT) | instid1(VALU_DEP_1)
	v_dual_fmamk_f32 v4, v32, 0xbf75a155, v9 :: v_dual_add_f32 v3, v3, v7
	v_add_f32_e32 v2, v4, v2
	v_add_f32_e32 v34, v17, v5
	v_fma_f32 v4, 0xbf75a155, v32, -v9
	s_delay_alu instid0(VALU_DEP_1) | instskip(NEXT) | instid1(VALU_DEP_1)
	v_dual_mul_f32 v17, 0x3f575c64, v19 :: v_dual_add_f32 v4, v4, v10
	v_fmamk_f32 v7, v20, 0xbf0a6770, v17
	v_fmac_f32_e32 v17, 0x3f0a6770, v20
	s_delay_alu instid0(VALU_DEP_2) | instskip(SKIP_1) | instid1(VALU_DEP_3)
	v_dual_add_f32 v7, v7, v22 :: v_dual_fmac_f32 v18, 0xbe903f40, v20
	v_mul_f32_e32 v16, 0x3f0a6770, v35
	v_dual_add_f32 v10, v17, v12 :: v_dual_mul_f32 v17, 0x3f68dda4, v35
	s_delay_alu instid0(VALU_DEP_3) | instskip(NEXT) | instid1(VALU_DEP_3)
	v_add_f32_e32 v5, v18, v13
	v_fmamk_f32 v9, v32, 0x3f575c64, v16
	v_mul_f32_e32 v13, 0xbf4178ce, v35
	s_delay_alu instid0(VALU_DEP_4) | instskip(NEXT) | instid1(VALU_DEP_3)
	v_fma_f32 v21, 0x3ed4b147, v32, -v17
	v_add_f32_e32 v6, v9, v6
	v_fma_f32 v9, 0x3f575c64, v32, -v16
	s_delay_alu instid0(VALU_DEP_4) | instskip(NEXT) | instid1(VALU_DEP_1)
	v_fma_f32 v18, 0xbf27a4f4, v32, -v13
	v_dual_add_f32 v9, v9, v15 :: v_dual_add_f32 v14, v18, v14
	v_dual_mul_f32 v36, 0xbf27a4f4, v19 :: v_dual_fmamk_f32 v15, v32, 0xbf27a4f4, v13
	s_delay_alu instid0(VALU_DEP_1) | instskip(SKIP_3) | instid1(VALU_DEP_3)
	v_add_f32_e32 v12, v15, v23
	v_mul_f32_e32 v15, 0x3ed4b147, v19
	v_mul_f32_e32 v23, 0xbe11bafb, v19
	;; [unrolled: 1-line block ×3, first 2 shown]
	v_fmamk_f32 v18, v20, 0xbf68dda4, v15
	v_fmamk_f32 v16, v20, 0x3f4178ce, v36
	s_delay_alu instid0(VALU_DEP_1) | instskip(SKIP_1) | instid1(VALU_DEP_1)
	v_dual_fmac_f32 v36, 0xbf4178ce, v20 :: v_dual_add_f32 v13, v16, v26
	v_fmamk_f32 v16, v32, 0x3ed4b147, v17
	v_dual_fmac_f32 v15, 0x3f68dda4, v20 :: v_dual_add_f32 v16, v16, v25
	v_fmamk_f32 v25, v20, 0x3f7d64f0, v23
	v_fmac_f32_e32 v23, 0xbf7d64f0, v20
	s_delay_alu instid0(VALU_DEP_3) | instskip(SKIP_4) | instid1(VALU_DEP_3)
	v_add_f32_e32 v19, v15, v28
	v_add_f32_e32 v17, v18, v27
	v_dual_add_f32 v18, v21, v31 :: v_dual_fmamk_f32 v21, v32, 0xbe11bafb, v22
	v_fma_f32 v22, 0xbe11bafb, v32, -v22
	v_add_f32_e32 v23, v23, v34
	v_dual_add_f32 v15, v36, v24 :: v_dual_add_f32 v20, v21, v33
	s_delay_alu instid0(VALU_DEP_3)
	v_dual_add_f32 v21, v25, v30 :: v_dual_add_f32 v22, v22, v29
	ds_store_2addr_b64 v11, v[0:1], v[2:3] offset1:1
	ds_store_2addr_b64 v11, v[6:7], v[12:13] offset0:2 offset1:3
	ds_store_2addr_b64 v11, v[16:17], v[20:21] offset0:4 offset1:5
	;; [unrolled: 1-line block ×4, first 2 shown]
	ds_store_b64 v11, v[4:5] offset:80
	global_wb scope:SCOPE_SE
	s_wait_dscnt 0x0
	s_barrier_signal -1
	s_barrier_wait -1
	global_inv scope:SCOPE_SE
	ds_load_2addr_b64 v[0:3], v11 offset1:1
	ds_load_2addr_b64 v[4:7], v11 offset0:2 offset1:3
	v_mad_co_u64_u32 v[22:23], null, s30, v8, 0
	s_wait_dscnt 0x1
	v_dual_mul_f32 v9, s37, v1 :: v_dual_mul_f32 v14, s39, v3
	s_wait_dscnt 0x0
	v_dual_mul_f32 v15, s39, v2 :: v_dual_mul_f32 v16, s41, v5
	s_delay_alu instid0(VALU_DEP_2) | instskip(NEXT) | instid1(VALU_DEP_3)
	v_dual_mul_f32 v17, s41, v4 :: v_dual_fmac_f32 v14, s38, v2
	v_dual_mul_f32 v2, s43, v7 :: v_dual_fmac_f32 v9, s36, v0
	v_mul_f32_e32 v0, s37, v0
	s_delay_alu instid0(VALU_DEP_4) | instskip(NEXT) | instid1(VALU_DEP_3)
	v_fmac_f32_e32 v16, s40, v4
	v_fmac_f32_e32 v2, s42, v6
	s_delay_alu instid0(VALU_DEP_4) | instskip(NEXT) | instid1(VALU_DEP_4)
	v_cvt_f64_f32_e32 v[9:10], v9
	v_fma_f32 v0, s36, v1, -v0
	s_delay_alu instid0(VALU_DEP_3) | instskip(NEXT) | instid1(VALU_DEP_2)
	v_cvt_f64_f32_e32 v[20:21], v2
	v_cvt_f64_f32_e32 v[0:1], v0
	s_wait_alu 0xfffe
	s_delay_alu instid0(VALU_DEP_4) | instskip(NEXT) | instid1(VALU_DEP_3)
	v_mul_f64_e32 v[9:10], s[2:3], v[9:10]
	v_mul_f64_e32 v[20:21], s[2:3], v[20:21]
	s_delay_alu instid0(VALU_DEP_3) | instskip(SKIP_4) | instid1(VALU_DEP_4)
	v_mul_f64_e32 v[12:13], s[2:3], v[0:1]
	v_fma_f32 v1, s40, v5, -v17
	v_cvt_f64_f32_e32 v[4:5], v14
	v_fma_f32 v0, s38, v3, -v15
	v_cvt_f64_f32_e32 v[16:17], v16
	v_cvt_f64_f32_e32 v[18:19], v1
	s_delay_alu instid0(VALU_DEP_3) | instskip(SKIP_2) | instid1(VALU_DEP_2)
	v_cvt_f64_f32_e32 v[14:15], v0
	v_mul_f32_e32 v0, s43, v6
	v_mov_b32_e32 v6, v23
	v_fma_f32 v0, s42, v7, -v0
	s_delay_alu instid0(VALU_DEP_2) | instskip(NEXT) | instid1(VALU_DEP_2)
	v_mad_co_u64_u32 v[6:7], null, s31, v8, v[6:7]
	v_cvt_f64_f32_e32 v[24:25], v0
	ds_load_2addr_b64 v[0:3], v11 offset0:4 offset1:5
	v_mov_b32_e32 v23, v6
	v_cvt_f32_f64_e32 v8, v[9:10]
	v_cvt_f32_f64_e32 v20, v[20:21]
	;; [unrolled: 1-line block ×3, first 2 shown]
	v_mul_f64_e32 v[26:27], s[2:3], v[4:5]
	ds_load_2addr_b64 v[4:7], v11 offset0:6 offset1:7
	s_wait_dscnt 0x1
	v_mul_f32_e32 v10, s45, v1
	v_dual_mul_f32 v30, s45, v0 :: v_dual_mul_f32 v31, s47, v3
	v_mul_f32_e32 v32, s47, v2
	v_mul_f64_e32 v[28:29], s[2:3], v[14:15]
	s_delay_alu instid0(VALU_DEP_4) | instskip(NEXT) | instid1(VALU_DEP_4)
	v_fmac_f32_e32 v10, s44, v0
	v_fma_f32 v30, s44, v1, -v30
	v_fmac_f32_e32 v31, s46, v2
	v_mul_f64_e32 v[16:17], s[2:3], v[16:17]
	v_mul_f64_e32 v[18:19], s[2:3], v[18:19]
	ds_load_2addr_b64 v[12:15], v11 offset0:8 offset1:9
	v_lshlrev_b64_e32 v[22:23], 3, v[22:23]
	v_mul_f64_e32 v[0:1], s[2:3], v[24:25]
	v_cvt_f64_f32_e32 v[24:25], v30
	v_cvt_f64_f32_e32 v[30:31], v31
	s_delay_alu instid0(VALU_DEP_4)
	v_add_co_u32 v22, vcc_lo, s0, v22
	s_wait_dscnt 0x1
	v_mul_f32_e32 v35, s49, v4
	v_fma_f32 v32, s46, v3, -v32
	v_cvt_f64_f32_e32 v[2:3], v10
	ds_load_b64 v[10:11], v11 offset:80
	s_wait_alu 0xfffd
	v_add_co_ci_u32_e32 v23, vcc_lo, s1, v23, vcc_lo
	v_cvt_f64_f32_e32 v[32:33], v32
	v_dual_mul_f32 v34, s49, v5 :: v_dual_mul_f32 v37, s51, v6
	s_wait_dscnt 0x1
	v_dual_mul_f32 v36, s51, v7 :: v_dual_mul_f32 v41, s7, v14
	v_mul_f32_e32 v38, s5, v13
	v_mul_f32_e32 v40, s7, v15
	v_fmac_f32_e32 v34, s48, v4
	v_fma_f32 v35, s48, v5, -v35
	v_fmac_f32_e32 v36, s50, v6
	v_cvt_f32_f64_e32 v26, v[26:27]
	v_fmac_f32_e32 v40, s6, v14
	v_fma_f32 v37, s50, v7, -v37
	v_cvt_f64_f32_e32 v[4:5], v34
	v_cvt_f64_f32_e32 v[6:7], v35
	;; [unrolled: 1-line block ×3, first 2 shown]
	v_cvt_f32_f64_e32 v27, v[28:29]
	s_wait_dscnt 0x0
	v_dual_mul_f32 v43, s9, v10 :: v_dual_fmac_f32 v38, s4, v12
	v_mul_f32_e32 v42, s9, v11
	v_cvt_f32_f64_e32 v16, v[16:17]
	v_cvt_f32_f64_e32 v17, v[18:19]
	s_delay_alu instid0(VALU_DEP_4)
	v_fma_f32 v43, s8, v11, -v43
	v_cvt_f64_f32_e32 v[38:39], v38
	v_fmac_f32_e32 v42, s8, v10
	v_fma_f32 v14, s6, v15, -v41
	v_cvt_f64_f32_e32 v[36:37], v37
	v_cvt_f32_f64_e32 v21, v[0:1]
	v_mul_f64_e32 v[24:25], s[2:3], v[24:25]
	v_mul_f64_e32 v[18:19], s[2:3], v[30:31]
	v_cvt_f64_f32_e32 v[14:15], v14
	global_store_b64 v[22:23], v[8:9], off
	v_mad_co_u64_u32 v[30:31], null, s28, 24, v[22:23]
	v_mul_f64_e32 v[2:3], s[2:3], v[2:3]
	s_lshl_b64 s[0:1], s[28:29], 3
	v_mul_f64_e32 v[28:29], s[2:3], v[32:33]
	v_mul_f64_e32 v[0:1], s[2:3], v[4:5]
	v_mul_f64_e32 v[4:5], s[2:3], v[6:7]
	v_mul_f64_e32 v[6:7], s[2:3], v[34:35]
	v_mul_f64_e32 v[32:33], s[2:3], v[38:39]
	s_wait_alu 0xfffe
	v_add_co_u32 v38, vcc_lo, v22, s0
	v_mul_f64_e32 v[8:9], s[2:3], v[36:37]
	s_wait_alu 0xfffd
	v_add_co_ci_u32_e32 v39, vcc_lo, s1, v23, vcc_lo
	v_cvt_f32_f64_e32 v18, v[18:19]
	v_mul_f64_e32 v[14:15], s[2:3], v[14:15]
	s_lshl_b64 s[0:1], s[28:29], 4
	global_store_b64 v[38:39], v[26:27], off
	v_mad_co_u64_u32 v[26:27], null, 0x48, s28, v[22:23]
	v_cvt_f32_f64_e32 v2, v[2:3]
	v_cvt_f32_f64_e32 v3, v[24:25]
	v_mad_co_u64_u32 v[24:25], null, s28, 40, v[22:23]
	v_cvt_f32_f64_e32 v19, v[28:29]
	v_mad_co_u64_u32 v[28:29], null, 0x50, s28, v[22:23]
	v_mul_f32_e32 v12, s5, v12
	s_delay_alu instid0(VALU_DEP_1) | instskip(SKIP_1) | instid1(VALU_DEP_2)
	v_fma_f32 v12, s4, v13, -v12
	v_cvt_f32_f64_e32 v0, v[0:1]
	v_cvt_f64_f32_e32 v[10:11], v12
	v_cvt_f64_f32_e32 v[12:13], v40
	;; [unrolled: 1-line block ×4, first 2 shown]
	v_cvt_f32_f64_e32 v6, v[6:7]
	v_cvt_f32_f64_e32 v1, v[4:5]
	v_mad_co_u64_u32 v[4:5], null, s28, 48, v[22:23]
	v_cvt_f32_f64_e32 v7, v[8:9]
	v_mad_co_u64_u32 v[8:9], null, s28, 56, v[22:23]
	v_mul_f64_e32 v[10:11], s[2:3], v[10:11]
	v_mul_f64_e32 v[12:13], s[2:3], v[12:13]
	;; [unrolled: 1-line block ×4, first 2 shown]
	v_mad_co_u64_u32 v[40:41], null, s29, 24, v[31:32]
	s_wait_alu 0xfffe
	v_add_co_u32 v41, vcc_lo, v22, s0
	s_wait_alu 0xfffd
	v_add_co_ci_u32_e32 v42, vcc_lo, s1, v23, vcc_lo
	s_lshl_b64 s[0:1], s[28:29], 5
	s_delay_alu instid0(VALU_DEP_3)
	v_mov_b32_e32 v31, v40
	s_clause 0x1
	global_store_b64 v[41:42], v[16:17], off
	global_store_b64 v[30:31], v[20:21], off
	v_cvt_f32_f64_e32 v20, v[32:33]
	v_mov_b32_e32 v16, v25
	v_mad_co_u64_u32 v[30:31], null, s29, 48, v[5:6]
	s_delay_alu instid0(VALU_DEP_2) | instskip(NEXT) | instid1(VALU_DEP_2)
	v_mad_co_u64_u32 v[16:17], null, s29, 40, v[16:17]
	v_mov_b32_e32 v5, v30
	s_delay_alu instid0(VALU_DEP_2)
	v_mov_b32_e32 v25, v16
	v_cvt_f32_f64_e32 v21, v[10:11]
	v_cvt_f32_f64_e32 v10, v[12:13]
	;; [unrolled: 1-line block ×5, first 2 shown]
	s_wait_alu 0xfffe
	v_add_co_u32 v14, vcc_lo, v22, s0
	s_wait_alu 0xfffd
	v_add_co_ci_u32_e32 v15, vcc_lo, s1, v23, vcc_lo
	s_lshl_b64 s[0:1], s[28:29], 6
	s_clause 0x1
	global_store_b64 v[14:15], v[2:3], off
	global_store_b64 v[24:25], v[18:19], off
	v_mad_co_u64_u32 v[2:3], null, s29, 56, v[9:10]
	v_mov_b32_e32 v9, v29
	v_mov_b32_e32 v3, v27
	s_delay_alu instid0(VALU_DEP_1) | instskip(NEXT) | instid1(VALU_DEP_3)
	v_mad_co_u64_u32 v[14:15], null, 0x48, s29, v[3:4]
	v_mad_co_u64_u32 v[15:16], null, 0x50, s29, v[9:10]
	v_mov_b32_e32 v9, v2
	s_wait_alu 0xfffe
	v_add_co_u32 v2, vcc_lo, v22, s0
	s_wait_alu 0xfffd
	v_add_co_ci_u32_e32 v3, vcc_lo, s1, v23, vcc_lo
	v_mov_b32_e32 v27, v14
	v_mov_b32_e32 v29, v15
	s_clause 0x4
	global_store_b64 v[4:5], v[0:1], off
	global_store_b64 v[8:9], v[6:7], off
	;; [unrolled: 1-line block ×5, first 2 shown]
.LBB0_2:
	s_nop 0
	s_sendmsg sendmsg(MSG_DEALLOC_VGPRS)
	s_endpgm
	.section	.rodata,"a",@progbits
	.p2align	6, 0x0
	.amdhsa_kernel bluestein_single_back_len11_dim1_sp_op_CI_CI
		.amdhsa_group_segment_fixed_size 11264
		.amdhsa_private_segment_fixed_size 0
		.amdhsa_kernarg_size 104
		.amdhsa_user_sgpr_count 2
		.amdhsa_user_sgpr_dispatch_ptr 0
		.amdhsa_user_sgpr_queue_ptr 0
		.amdhsa_user_sgpr_kernarg_segment_ptr 1
		.amdhsa_user_sgpr_dispatch_id 0
		.amdhsa_user_sgpr_private_segment_size 0
		.amdhsa_wavefront_size32 1
		.amdhsa_uses_dynamic_stack 0
		.amdhsa_enable_private_segment 0
		.amdhsa_system_sgpr_workgroup_id_x 1
		.amdhsa_system_sgpr_workgroup_id_y 0
		.amdhsa_system_sgpr_workgroup_id_z 0
		.amdhsa_system_sgpr_workgroup_info 0
		.amdhsa_system_vgpr_workitem_id 0
		.amdhsa_next_free_vgpr 115
		.amdhsa_next_free_sgpr 56
		.amdhsa_reserve_vcc 1
		.amdhsa_float_round_mode_32 0
		.amdhsa_float_round_mode_16_64 0
		.amdhsa_float_denorm_mode_32 3
		.amdhsa_float_denorm_mode_16_64 3
		.amdhsa_fp16_overflow 0
		.amdhsa_workgroup_processor_mode 1
		.amdhsa_memory_ordered 1
		.amdhsa_forward_progress 0
		.amdhsa_round_robin_scheduling 0
		.amdhsa_exception_fp_ieee_invalid_op 0
		.amdhsa_exception_fp_denorm_src 0
		.amdhsa_exception_fp_ieee_div_zero 0
		.amdhsa_exception_fp_ieee_overflow 0
		.amdhsa_exception_fp_ieee_underflow 0
		.amdhsa_exception_fp_ieee_inexact 0
		.amdhsa_exception_int_div_zero 0
	.end_amdhsa_kernel
	.text
.Lfunc_end0:
	.size	bluestein_single_back_len11_dim1_sp_op_CI_CI, .Lfunc_end0-bluestein_single_back_len11_dim1_sp_op_CI_CI
                                        ; -- End function
	.section	.AMDGPU.csdata,"",@progbits
; Kernel info:
; codeLenInByte = 6556
; NumSgprs: 58
; NumVgprs: 115
; ScratchSize: 0
; MemoryBound: 0
; FloatMode: 240
; IeeeMode: 1
; LDSByteSize: 11264 bytes/workgroup (compile time only)
; SGPRBlocks: 7
; VGPRBlocks: 14
; NumSGPRsForWavesPerEU: 58
; NumVGPRsForWavesPerEU: 115
; Occupancy: 11
; WaveLimiterHint : 1
; COMPUTE_PGM_RSRC2:SCRATCH_EN: 0
; COMPUTE_PGM_RSRC2:USER_SGPR: 2
; COMPUTE_PGM_RSRC2:TRAP_HANDLER: 0
; COMPUTE_PGM_RSRC2:TGID_X_EN: 1
; COMPUTE_PGM_RSRC2:TGID_Y_EN: 0
; COMPUTE_PGM_RSRC2:TGID_Z_EN: 0
; COMPUTE_PGM_RSRC2:TIDIG_COMP_CNT: 0
	.text
	.p2alignl 7, 3214868480
	.fill 96, 4, 3214868480
	.type	__hip_cuid_212daf60a0871f55,@object ; @__hip_cuid_212daf60a0871f55
	.section	.bss,"aw",@nobits
	.globl	__hip_cuid_212daf60a0871f55
__hip_cuid_212daf60a0871f55:
	.byte	0                               ; 0x0
	.size	__hip_cuid_212daf60a0871f55, 1

	.ident	"AMD clang version 19.0.0git (https://github.com/RadeonOpenCompute/llvm-project roc-6.4.0 25133 c7fe45cf4b819c5991fe208aaa96edf142730f1d)"
	.section	".note.GNU-stack","",@progbits
	.addrsig
	.addrsig_sym __hip_cuid_212daf60a0871f55
	.amdgpu_metadata
---
amdhsa.kernels:
  - .args:
      - .actual_access:  read_only
        .address_space:  global
        .offset:         0
        .size:           8
        .value_kind:     global_buffer
      - .actual_access:  read_only
        .address_space:  global
        .offset:         8
        .size:           8
        .value_kind:     global_buffer
      - .actual_access:  read_only
        .address_space:  global
        .offset:         16
        .size:           8
        .value_kind:     global_buffer
      - .actual_access:  read_only
        .address_space:  global
        .offset:         24
        .size:           8
        .value_kind:     global_buffer
      - .actual_access:  read_only
        .address_space:  global
        .offset:         32
        .size:           8
        .value_kind:     global_buffer
      - .offset:         40
        .size:           8
        .value_kind:     by_value
      - .address_space:  global
        .offset:         48
        .size:           8
        .value_kind:     global_buffer
      - .address_space:  global
        .offset:         56
        .size:           8
        .value_kind:     global_buffer
      - .address_space:  global
        .offset:         64
        .size:           8
        .value_kind:     global_buffer
      - .address_space:  global
        .offset:         72
        .size:           8
        .value_kind:     global_buffer
      - .offset:         80
        .size:           4
        .value_kind:     by_value
      - .address_space:  global
        .offset:         88
        .size:           8
        .value_kind:     global_buffer
      - .address_space:  global
        .offset:         96
        .size:           8
        .value_kind:     global_buffer
    .group_segment_fixed_size: 11264
    .kernarg_segment_align: 8
    .kernarg_segment_size: 104
    .language:       OpenCL C
    .language_version:
      - 2
      - 0
    .max_flat_workgroup_size: 128
    .name:           bluestein_single_back_len11_dim1_sp_op_CI_CI
    .private_segment_fixed_size: 0
    .sgpr_count:     58
    .sgpr_spill_count: 0
    .symbol:         bluestein_single_back_len11_dim1_sp_op_CI_CI.kd
    .uniform_work_group_size: 1
    .uses_dynamic_stack: false
    .vgpr_count:     115
    .vgpr_spill_count: 0
    .wavefront_size: 32
    .workgroup_processor_mode: 1
amdhsa.target:   amdgcn-amd-amdhsa--gfx1201
amdhsa.version:
  - 1
  - 2
...

	.end_amdgpu_metadata
